;; amdgpu-corpus repo=ROCm/rocFFT kind=compiled arch=gfx906 opt=O3
	.text
	.amdgcn_target "amdgcn-amd-amdhsa--gfx906"
	.amdhsa_code_object_version 6
	.protected	fft_rtc_back_len104_factors_13_8_wgs_64_tpt_8_halfLds_dp_op_CI_CI_unitstride_sbrr_C2R_dirReg ; -- Begin function fft_rtc_back_len104_factors_13_8_wgs_64_tpt_8_halfLds_dp_op_CI_CI_unitstride_sbrr_C2R_dirReg
	.globl	fft_rtc_back_len104_factors_13_8_wgs_64_tpt_8_halfLds_dp_op_CI_CI_unitstride_sbrr_C2R_dirReg
	.p2align	8
	.type	fft_rtc_back_len104_factors_13_8_wgs_64_tpt_8_halfLds_dp_op_CI_CI_unitstride_sbrr_C2R_dirReg,@function
fft_rtc_back_len104_factors_13_8_wgs_64_tpt_8_halfLds_dp_op_CI_CI_unitstride_sbrr_C2R_dirReg: ; @fft_rtc_back_len104_factors_13_8_wgs_64_tpt_8_halfLds_dp_op_CI_CI_unitstride_sbrr_C2R_dirReg
; %bb.0:
	s_load_dwordx4 s[8:11], s[4:5], 0x58
	s_load_dwordx4 s[12:15], s[4:5], 0x0
	;; [unrolled: 1-line block ×3, first 2 shown]
	v_lshrrev_b32_e32 v7, 3, v0
	v_mov_b32_e32 v3, 0
	v_mov_b32_e32 v1, 0
	s_waitcnt lgkmcnt(0)
	v_cmp_lt_u64_e64 s[0:1], s[14:15], 2
	v_lshl_or_b32 v5, s6, 3, v7
	v_mov_b32_e32 v6, v3
	s_and_b64 vcc, exec, s[0:1]
	v_mov_b32_e32 v2, 0
	s_cbranch_vccnz .LBB0_8
; %bb.1:
	s_load_dwordx2 s[0:1], s[4:5], 0x10
	s_add_u32 s2, s18, 8
	s_addc_u32 s3, s19, 0
	s_add_u32 s6, s16, 8
	v_mov_b32_e32 v1, 0
	s_addc_u32 s7, s17, 0
	v_mov_b32_e32 v2, 0
	s_waitcnt lgkmcnt(0)
	s_add_u32 s20, s0, 8
	v_mov_b32_e32 v65, v2
	s_addc_u32 s21, s1, 0
	s_mov_b64 s[22:23], 1
	v_mov_b32_e32 v64, v1
.LBB0_2:                                ; =>This Inner Loop Header: Depth=1
	s_load_dwordx2 s[24:25], s[20:21], 0x0
                                        ; implicit-def: $vgpr68_vgpr69
	s_waitcnt lgkmcnt(0)
	v_or_b32_e32 v4, s25, v6
	v_cmp_ne_u64_e32 vcc, 0, v[3:4]
	s_and_saveexec_b64 s[0:1], vcc
	s_xor_b64 s[26:27], exec, s[0:1]
	s_cbranch_execz .LBB0_4
; %bb.3:                                ;   in Loop: Header=BB0_2 Depth=1
	v_cvt_f32_u32_e32 v4, s24
	v_cvt_f32_u32_e32 v8, s25
	s_sub_u32 s0, 0, s24
	s_subb_u32 s1, 0, s25
	v_mac_f32_e32 v4, 0x4f800000, v8
	v_rcp_f32_e32 v4, v4
	v_mul_f32_e32 v4, 0x5f7ffffc, v4
	v_mul_f32_e32 v8, 0x2f800000, v4
	v_trunc_f32_e32 v8, v8
	v_mac_f32_e32 v4, 0xcf800000, v8
	v_cvt_u32_f32_e32 v8, v8
	v_cvt_u32_f32_e32 v4, v4
	v_mul_lo_u32 v9, s0, v8
	v_mul_hi_u32 v10, s0, v4
	v_mul_lo_u32 v12, s1, v4
	v_mul_lo_u32 v11, s0, v4
	v_add_u32_e32 v9, v10, v9
	v_add_u32_e32 v9, v9, v12
	v_mul_hi_u32 v10, v4, v11
	v_mul_lo_u32 v12, v4, v9
	v_mul_hi_u32 v14, v4, v9
	v_mul_hi_u32 v13, v8, v11
	v_mul_lo_u32 v11, v8, v11
	v_mul_hi_u32 v15, v8, v9
	v_add_co_u32_e32 v10, vcc, v10, v12
	v_addc_co_u32_e32 v12, vcc, 0, v14, vcc
	v_mul_lo_u32 v9, v8, v9
	v_add_co_u32_e32 v10, vcc, v10, v11
	v_addc_co_u32_e32 v10, vcc, v12, v13, vcc
	v_addc_co_u32_e32 v11, vcc, 0, v15, vcc
	v_add_co_u32_e32 v9, vcc, v10, v9
	v_addc_co_u32_e32 v10, vcc, 0, v11, vcc
	v_add_co_u32_e32 v4, vcc, v4, v9
	v_addc_co_u32_e32 v8, vcc, v8, v10, vcc
	v_mul_lo_u32 v9, s0, v8
	v_mul_hi_u32 v10, s0, v4
	v_mul_lo_u32 v11, s1, v4
	v_mul_lo_u32 v12, s0, v4
	v_add_u32_e32 v9, v10, v9
	v_add_u32_e32 v9, v9, v11
	v_mul_lo_u32 v13, v4, v9
	v_mul_hi_u32 v14, v4, v12
	v_mul_hi_u32 v15, v4, v9
	v_mul_hi_u32 v11, v8, v12
	v_mul_lo_u32 v12, v8, v12
	v_mul_hi_u32 v10, v8, v9
	v_add_co_u32_e32 v13, vcc, v14, v13
	v_addc_co_u32_e32 v14, vcc, 0, v15, vcc
	v_mul_lo_u32 v9, v8, v9
	v_add_co_u32_e32 v12, vcc, v13, v12
	v_addc_co_u32_e32 v11, vcc, v14, v11, vcc
	v_addc_co_u32_e32 v10, vcc, 0, v10, vcc
	v_add_co_u32_e32 v9, vcc, v11, v9
	v_addc_co_u32_e32 v10, vcc, 0, v10, vcc
	v_add_co_u32_e32 v4, vcc, v4, v9
	v_addc_co_u32_e32 v10, vcc, v8, v10, vcc
	v_mad_u64_u32 v[8:9], s[0:1], v5, v10, 0
	v_mul_hi_u32 v11, v5, v4
	v_add_co_u32_e32 v12, vcc, v11, v8
	v_addc_co_u32_e32 v13, vcc, 0, v9, vcc
	v_mad_u64_u32 v[8:9], s[0:1], v6, v4, 0
	v_mad_u64_u32 v[10:11], s[0:1], v6, v10, 0
	v_add_co_u32_e32 v4, vcc, v12, v8
	v_addc_co_u32_e32 v4, vcc, v13, v9, vcc
	v_addc_co_u32_e32 v8, vcc, 0, v11, vcc
	v_add_co_u32_e32 v4, vcc, v4, v10
	v_addc_co_u32_e32 v10, vcc, 0, v8, vcc
	v_mul_lo_u32 v11, s25, v4
	v_mul_lo_u32 v12, s24, v10
	v_mad_u64_u32 v[8:9], s[0:1], s24, v4, 0
	v_add3_u32 v9, v9, v12, v11
	v_sub_u32_e32 v11, v6, v9
	v_mov_b32_e32 v12, s25
	v_sub_co_u32_e32 v8, vcc, v5, v8
	v_subb_co_u32_e64 v11, s[0:1], v11, v12, vcc
	v_subrev_co_u32_e64 v12, s[0:1], s24, v8
	v_subbrev_co_u32_e64 v11, s[0:1], 0, v11, s[0:1]
	v_cmp_le_u32_e64 s[0:1], s25, v11
	v_cndmask_b32_e64 v13, 0, -1, s[0:1]
	v_cmp_le_u32_e64 s[0:1], s24, v12
	v_cndmask_b32_e64 v12, 0, -1, s[0:1]
	v_cmp_eq_u32_e64 s[0:1], s25, v11
	v_cndmask_b32_e64 v11, v13, v12, s[0:1]
	v_add_co_u32_e64 v12, s[0:1], 2, v4
	v_addc_co_u32_e64 v13, s[0:1], 0, v10, s[0:1]
	v_add_co_u32_e64 v14, s[0:1], 1, v4
	v_addc_co_u32_e64 v15, s[0:1], 0, v10, s[0:1]
	v_subb_co_u32_e32 v9, vcc, v6, v9, vcc
	v_cmp_ne_u32_e64 s[0:1], 0, v11
	v_cmp_le_u32_e32 vcc, s25, v9
	v_cndmask_b32_e64 v11, v15, v13, s[0:1]
	v_cndmask_b32_e64 v13, 0, -1, vcc
	v_cmp_le_u32_e32 vcc, s24, v8
	v_cndmask_b32_e64 v8, 0, -1, vcc
	v_cmp_eq_u32_e32 vcc, s25, v9
	v_cndmask_b32_e32 v8, v13, v8, vcc
	v_cmp_ne_u32_e32 vcc, 0, v8
	v_cndmask_b32_e64 v8, v14, v12, s[0:1]
	v_cndmask_b32_e32 v69, v10, v11, vcc
	v_cndmask_b32_e32 v68, v4, v8, vcc
.LBB0_4:                                ;   in Loop: Header=BB0_2 Depth=1
	s_andn2_saveexec_b64 s[0:1], s[26:27]
	s_cbranch_execz .LBB0_6
; %bb.5:                                ;   in Loop: Header=BB0_2 Depth=1
	v_cvt_f32_u32_e32 v4, s24
	s_sub_i32 s26, 0, s24
	v_mov_b32_e32 v69, v3
	v_rcp_iflag_f32_e32 v4, v4
	v_mul_f32_e32 v4, 0x4f7ffffe, v4
	v_cvt_u32_f32_e32 v4, v4
	v_mul_lo_u32 v8, s26, v4
	v_mul_hi_u32 v8, v4, v8
	v_add_u32_e32 v4, v4, v8
	v_mul_hi_u32 v4, v5, v4
	v_mul_lo_u32 v8, v4, s24
	v_add_u32_e32 v9, 1, v4
	v_sub_u32_e32 v8, v5, v8
	v_subrev_u32_e32 v10, s24, v8
	v_cmp_le_u32_e32 vcc, s24, v8
	v_cndmask_b32_e32 v8, v8, v10, vcc
	v_cndmask_b32_e32 v4, v4, v9, vcc
	v_add_u32_e32 v9, 1, v4
	v_cmp_le_u32_e32 vcc, s24, v8
	v_cndmask_b32_e32 v68, v4, v9, vcc
.LBB0_6:                                ;   in Loop: Header=BB0_2 Depth=1
	s_or_b64 exec, exec, s[0:1]
	v_mul_lo_u32 v4, v69, s24
	v_mul_lo_u32 v10, v68, s25
	v_mad_u64_u32 v[8:9], s[0:1], v68, s24, 0
	s_load_dwordx2 s[0:1], s[6:7], 0x0
	s_load_dwordx2 s[24:25], s[2:3], 0x0
	v_add3_u32 v4, v9, v10, v4
	v_sub_co_u32_e32 v5, vcc, v5, v8
	v_subb_co_u32_e32 v4, vcc, v6, v4, vcc
	s_waitcnt lgkmcnt(0)
	v_mul_lo_u32 v6, s0, v4
	v_mul_lo_u32 v8, s1, v5
	v_mad_u64_u32 v[1:2], s[0:1], s0, v5, v[1:2]
	v_mul_lo_u32 v4, s24, v4
	v_mul_lo_u32 v9, s25, v5
	v_mad_u64_u32 v[64:65], s[0:1], s24, v5, v[64:65]
	s_add_u32 s22, s22, 1
	s_addc_u32 s23, s23, 0
	s_add_u32 s2, s2, 8
	v_add3_u32 v65, v9, v65, v4
	s_addc_u32 s3, s3, 0
	v_mov_b32_e32 v4, s14
	s_add_u32 s6, s6, 8
	v_mov_b32_e32 v5, s15
	s_addc_u32 s7, s7, 0
	v_cmp_ge_u64_e32 vcc, s[22:23], v[4:5]
	s_add_u32 s20, s20, 8
	v_add3_u32 v2, v8, v2, v6
	s_addc_u32 s21, s21, 0
	s_cbranch_vccnz .LBB0_9
; %bb.7:                                ;   in Loop: Header=BB0_2 Depth=1
	v_mov_b32_e32 v5, v68
	v_mov_b32_e32 v6, v69
	s_branch .LBB0_2
.LBB0_8:
	v_mov_b32_e32 v65, v2
	v_mov_b32_e32 v69, v6
	;; [unrolled: 1-line block ×4, first 2 shown]
.LBB0_9:
	s_load_dwordx2 s[0:1], s[4:5], 0x28
	s_lshl_b64 s[6:7], s[14:15], 3
	s_add_u32 s4, s18, s6
	s_addc_u32 s5, s19, s7
	v_and_b32_e32 v66, 7, v0
	s_waitcnt lgkmcnt(0)
	v_cmp_gt_u64_e32 vcc, s[0:1], v[68:69]
	v_cmp_le_u64_e64 s[0:1], s[0:1], v[68:69]
	s_and_saveexec_b64 s[2:3], s[0:1]
	s_xor_b64 s[0:1], exec, s[2:3]
; %bb.10:
	v_and_b32_e32 v66, 7, v0
                                        ; implicit-def: $vgpr1_vgpr2
; %bb.11:
	s_or_saveexec_b64 s[2:3], s[0:1]
	s_load_dwordx2 s[4:5], s[4:5], 0x0
	v_mul_u32_u24_e32 v3, 0x69, v7
	v_lshlrev_b32_e32 v71, 4, v3
	s_xor_b64 exec, exec, s[2:3]
	s_cbranch_execz .LBB0_15
; %bb.12:
	s_add_u32 s0, s16, s6
	s_addc_u32 s1, s17, s7
	s_load_dwordx2 s[0:1], s[0:1], 0x0
	v_mov_b32_e32 v8, s9
	v_lshlrev_b64 v[0:1], 4, v[1:2]
	s_waitcnt lgkmcnt(0)
	v_mul_lo_u32 v6, s1, v68
	v_mul_lo_u32 v7, s0, v69
	v_mad_u64_u32 v[4:5], s[0:1], s0, v68, 0
	v_add3_u32 v5, v5, v7, v6
	v_lshlrev_b64 v[4:5], 4, v[4:5]
	v_add_co_u32_e64 v2, s[0:1], s8, v4
	v_addc_co_u32_e64 v4, s[0:1], v8, v5, s[0:1]
	v_add_co_u32_e64 v0, s[0:1], v2, v0
	v_addc_co_u32_e64 v1, s[0:1], v4, v1, s[0:1]
	v_lshlrev_b32_e32 v2, 4, v66
	v_add_co_u32_e64 v56, s[0:1], v0, v2
	v_addc_co_u32_e64 v57, s[0:1], 0, v1, s[0:1]
	global_load_dwordx4 v[4:7], v[56:57], off
	global_load_dwordx4 v[8:11], v[56:57], off offset:128
	global_load_dwordx4 v[12:15], v[56:57], off offset:256
	;; [unrolled: 1-line block ×12, first 2 shown]
	v_add3_u32 v2, 0, v71, v2
	v_cmp_eq_u32_e64 s[0:1], 7, v66
	s_waitcnt vmcnt(12)
	ds_write_b128 v2, v[4:7]
	s_waitcnt vmcnt(11)
	ds_write_b128 v2, v[8:11] offset:128
	s_waitcnt vmcnt(10)
	ds_write_b128 v2, v[12:15] offset:256
	;; [unrolled: 2-line block ×12, first 2 shown]
	s_and_saveexec_b64 s[6:7], s[0:1]
	s_cbranch_execz .LBB0_14
; %bb.13:
	global_load_dwordx4 v[4:7], v[0:1], off offset:1664
	v_mov_b32_e32 v66, 7
	s_waitcnt vmcnt(0)
	ds_write_b128 v2, v[4:7] offset:1552
.LBB0_14:
	s_or_b64 exec, exec, s[6:7]
.LBB0_15:
	s_or_b64 exec, exec, s[2:3]
	v_lshl_add_u32 v70, v3, 4, 0
	v_lshlrev_b32_e32 v10, 4, v66
	v_add_u32_e32 v72, v70, v10
	s_waitcnt lgkmcnt(0)
	; wave barrier
	s_waitcnt lgkmcnt(0)
	v_sub_u32_e32 v11, v70, v10
	ds_read_b64 v[6:7], v72
	ds_read_b64 v[8:9], v11 offset:1664
	v_cmp_ne_u32_e64 s[0:1], 0, v66
                                        ; implicit-def: $vgpr4_vgpr5
	s_waitcnt lgkmcnt(0)
	v_add_f64 v[0:1], v[6:7], v[8:9]
	v_add_f64 v[2:3], v[6:7], -v[8:9]
	s_and_saveexec_b64 s[2:3], s[0:1]
	s_xor_b64 s[2:3], exec, s[2:3]
	s_cbranch_execz .LBB0_17
; %bb.16:
	v_mov_b32_e32 v67, 0
	v_lshlrev_b64 v[0:1], 4, v[66:67]
	v_mov_b32_e32 v2, s13
	v_add_co_u32_e64 v0, s[0:1], s12, v0
	v_addc_co_u32_e64 v1, s[0:1], v2, v1, s[0:1]
	global_load_dwordx4 v[2:5], v[0:1], off offset:1456
	ds_read_b64 v[0:1], v11 offset:1672
	ds_read_b64 v[12:13], v72 offset:8
	v_add_f64 v[14:15], v[6:7], v[8:9]
	v_add_f64 v[8:9], v[6:7], -v[8:9]
	s_waitcnt lgkmcnt(0)
	v_add_f64 v[16:17], v[0:1], v[12:13]
	v_add_f64 v[0:1], v[12:13], -v[0:1]
	s_waitcnt vmcnt(0)
	v_fma_f64 v[6:7], -v[8:9], v[4:5], v[14:15]
	v_fma_f64 v[12:13], v[16:17], v[4:5], -v[0:1]
	v_fma_f64 v[14:15], v[8:9], v[4:5], v[14:15]
	v_fma_f64 v[18:19], v[16:17], v[4:5], v[0:1]
	v_fma_f64 v[4:5], v[16:17], v[2:3], v[6:7]
	v_fma_f64 v[6:7], v[8:9], v[2:3], v[12:13]
	v_fma_f64 v[0:1], -v[16:17], v[2:3], v[14:15]
	v_fma_f64 v[2:3], v[8:9], v[2:3], v[18:19]
	ds_write_b128 v11, v[4:7] offset:1664
	v_mov_b32_e32 v4, v66
	v_mov_b32_e32 v5, v67
.LBB0_17:
	s_andn2_saveexec_b64 s[0:1], s[2:3]
	s_cbranch_execz .LBB0_19
; %bb.18:
	ds_read_b128 v[4:7], v70 offset:832
	s_waitcnt lgkmcnt(0)
	v_add_f64 v[12:13], v[4:5], v[4:5]
	v_mul_f64 v[14:15], v[6:7], -2.0
	v_mov_b32_e32 v4, 0
	v_mov_b32_e32 v5, 0
	ds_write_b128 v70, v[12:15] offset:832
.LBB0_19:
	s_or_b64 exec, exec, s[0:1]
	s_add_u32 s0, s12, 0x5b0
	v_lshlrev_b64 v[4:5], 4, v[4:5]
	s_addc_u32 s1, s13, 0
	v_mov_b32_e32 v6, s1
	v_add_co_u32_e64 v4, s[0:1], s0, v4
	v_addc_co_u32_e64 v5, s[0:1], v6, v5, s[0:1]
	global_load_dwordx4 v[6:9], v[4:5], off offset:128
	global_load_dwordx4 v[12:15], v[4:5], off offset:256
	ds_write_b128 v72, v[0:3]
	ds_read_b128 v[0:3], v72 offset:128
	ds_read_b128 v[16:19], v11 offset:1536
	global_load_dwordx4 v[20:23], v[4:5], off offset:384
	s_waitcnt lgkmcnt(0)
	v_add_f64 v[24:25], v[0:1], v[16:17]
	v_add_f64 v[26:27], v[18:19], v[2:3]
	v_add_f64 v[28:29], v[0:1], -v[16:17]
	v_add_f64 v[0:1], v[2:3], -v[18:19]
	s_waitcnt vmcnt(2)
	v_fma_f64 v[2:3], v[28:29], v[8:9], v[24:25]
	v_fma_f64 v[16:17], v[26:27], v[8:9], v[0:1]
	v_fma_f64 v[18:19], -v[28:29], v[8:9], v[24:25]
	v_fma_f64 v[8:9], v[26:27], v[8:9], -v[0:1]
	v_fma_f64 v[0:1], -v[26:27], v[6:7], v[2:3]
	v_fma_f64 v[2:3], v[28:29], v[6:7], v[16:17]
	v_fma_f64 v[16:17], v[26:27], v[6:7], v[18:19]
	v_fma_f64 v[18:19], v[28:29], v[6:7], v[8:9]
	ds_write_b128 v72, v[0:3] offset:128
	ds_write_b128 v11, v[16:19] offset:1536
	ds_read_b128 v[0:3], v72 offset:256
	ds_read_b128 v[6:9], v11 offset:1408
	global_load_dwordx4 v[16:19], v[4:5], off offset:512
	s_waitcnt lgkmcnt(0)
	v_add_f64 v[24:25], v[0:1], v[6:7]
	v_add_f64 v[26:27], v[8:9], v[2:3]
	v_add_f64 v[28:29], v[0:1], -v[6:7]
	v_add_f64 v[0:1], v[2:3], -v[8:9]
	s_waitcnt vmcnt(2)
	v_fma_f64 v[2:3], v[28:29], v[14:15], v[24:25]
	v_fma_f64 v[6:7], v[26:27], v[14:15], v[0:1]
	v_fma_f64 v[8:9], -v[28:29], v[14:15], v[24:25]
	v_fma_f64 v[14:15], v[26:27], v[14:15], -v[0:1]
	v_fma_f64 v[0:1], -v[26:27], v[12:13], v[2:3]
	v_fma_f64 v[2:3], v[28:29], v[12:13], v[6:7]
	v_fma_f64 v[6:7], v[26:27], v[12:13], v[8:9]
	v_fma_f64 v[8:9], v[28:29], v[12:13], v[14:15]
	ds_write_b128 v72, v[0:3] offset:256
	ds_write_b128 v11, v[6:9] offset:1408
	;; [unrolled: 19-line block ×3, first 2 shown]
	ds_read_b128 v[0:3], v72 offset:512
	ds_read_b128 v[6:9], v11 offset:1152
	s_waitcnt lgkmcnt(0)
	v_add_f64 v[20:21], v[0:1], v[6:7]
	v_add_f64 v[22:23], v[8:9], v[2:3]
	v_add_f64 v[24:25], v[0:1], -v[6:7]
	v_add_f64 v[0:1], v[2:3], -v[8:9]
	s_waitcnt vmcnt(1)
	v_fma_f64 v[2:3], v[24:25], v[18:19], v[20:21]
	v_fma_f64 v[6:7], v[22:23], v[18:19], v[0:1]
	v_fma_f64 v[8:9], -v[24:25], v[18:19], v[20:21]
	v_fma_f64 v[18:19], v[22:23], v[18:19], -v[0:1]
	v_fma_f64 v[0:1], -v[22:23], v[16:17], v[2:3]
	v_fma_f64 v[2:3], v[24:25], v[16:17], v[6:7]
	v_fma_f64 v[6:7], v[22:23], v[16:17], v[8:9]
	;; [unrolled: 1-line block ×3, first 2 shown]
	ds_write_b128 v72, v[0:3] offset:512
	ds_write_b128 v11, v[6:9] offset:1152
	ds_read_b128 v[0:3], v72 offset:640
	ds_read_b128 v[6:9], v11 offset:1024
	s_waitcnt lgkmcnt(0)
	v_add_f64 v[16:17], v[0:1], v[6:7]
	v_add_f64 v[18:19], v[8:9], v[2:3]
	v_add_f64 v[20:21], v[0:1], -v[6:7]
	v_add_f64 v[0:1], v[2:3], -v[8:9]
	s_waitcnt vmcnt(0)
	v_fma_f64 v[2:3], v[20:21], v[14:15], v[16:17]
	v_fma_f64 v[6:7], v[18:19], v[14:15], v[0:1]
	v_fma_f64 v[8:9], -v[20:21], v[14:15], v[16:17]
	v_fma_f64 v[14:15], v[18:19], v[14:15], -v[0:1]
	v_fma_f64 v[0:1], -v[18:19], v[12:13], v[2:3]
	v_fma_f64 v[2:3], v[20:21], v[12:13], v[6:7]
	v_fma_f64 v[6:7], v[18:19], v[12:13], v[8:9]
	;; [unrolled: 1-line block ×3, first 2 shown]
	v_or_b32_e32 v12, 48, v66
	v_cmp_gt_u32_e64 s[0:1], 52, v12
	ds_write_b128 v72, v[0:3] offset:640
	ds_write_b128 v11, v[6:9] offset:1024
	s_and_saveexec_b64 s[2:3], s[0:1]
	s_cbranch_execz .LBB0_21
; %bb.20:
	global_load_dwordx4 v[0:3], v[4:5], off offset:768
	ds_read_b128 v[4:7], v72 offset:768
	ds_read_b128 v[12:15], v11 offset:896
	s_waitcnt lgkmcnt(0)
	v_add_f64 v[8:9], v[4:5], v[12:13]
	v_add_f64 v[16:17], v[14:15], v[6:7]
	v_add_f64 v[12:13], v[4:5], -v[12:13]
	v_add_f64 v[4:5], v[6:7], -v[14:15]
	s_waitcnt vmcnt(0)
	v_fma_f64 v[6:7], v[12:13], v[2:3], v[8:9]
	v_fma_f64 v[14:15], v[16:17], v[2:3], v[4:5]
	v_fma_f64 v[8:9], -v[12:13], v[2:3], v[8:9]
	v_fma_f64 v[18:19], v[16:17], v[2:3], -v[4:5]
	v_fma_f64 v[2:3], -v[16:17], v[0:1], v[6:7]
	v_fma_f64 v[4:5], v[12:13], v[0:1], v[14:15]
	v_fma_f64 v[6:7], v[16:17], v[0:1], v[8:9]
	v_fma_f64 v[8:9], v[12:13], v[0:1], v[18:19]
	ds_write_b128 v72, v[2:5] offset:768
	ds_write_b128 v11, v[6:9] offset:896
.LBB0_21:
	s_or_b64 exec, exec, s[2:3]
	s_waitcnt lgkmcnt(0)
	; wave barrier
	s_waitcnt lgkmcnt(0)
	s_waitcnt lgkmcnt(0)
	; wave barrier
	s_waitcnt lgkmcnt(0)
	v_add3_u32 v67, 0, v10, v71
	ds_read_b128 v[0:3], v72
	ds_read_b128 v[4:7], v67 offset:128
	ds_read_b128 v[8:11], v67 offset:256
	;; [unrolled: 1-line block ×5, first 2 shown]
	s_waitcnt lgkmcnt(4)
	v_add_f64 v[16:17], v[0:1], v[4:5]
	v_add_f64 v[18:19], v[2:3], v[6:7]
	ds_read_b128 v[30:33], v67 offset:768
	ds_read_b128 v[34:37], v67 offset:896
	;; [unrolled: 1-line block ×7, first 2 shown]
	s_mov_b32 s22, 0x4267c47c
	s_mov_b32 s16, 0x42a4c3d2
	s_waitcnt lgkmcnt(5)
	v_add_f64 v[28:29], v[32:33], v[36:37]
	v_add_f64 v[16:17], v[16:17], v[8:9]
	v_add_f64 v[18:19], v[18:19], v[10:11]
	s_waitcnt lgkmcnt(4)
	v_add_f64 v[42:43], v[26:27], -v[46:47]
	s_waitcnt lgkmcnt(2)
	v_add_f64 v[56:57], v[14:15], v[75:76]
	v_add_f64 v[58:59], v[14:15], -v[75:76]
	s_mov_b32 s0, 0x66966769
	s_mov_b32 s6, 0x2ef20147
	;; [unrolled: 1-line block ×3, first 2 shown]
	v_add_f64 v[16:17], v[16:17], v[12:13]
	v_add_f64 v[18:19], v[18:19], v[14:15]
	s_mov_b32 s36, 0x4bc48dbf
	s_mov_b32 s23, 0xbfddbe06
	;; [unrolled: 1-line block ×6, first 2 shown]
	v_add_f64 v[16:17], v[16:17], v[20:21]
	v_add_f64 v[18:19], v[18:19], v[22:23]
	s_mov_b32 s37, 0xbfcea1e5
	v_add_f64 v[50:51], v[22:23], -v[54:55]
	s_waitcnt lgkmcnt(1)
	v_add_f64 v[60:61], v[10:11], v[79:80]
	v_add_f64 v[62:63], v[10:11], -v[79:80]
	s_mov_b32 s20, 0xe00740e9
	s_mov_b32 s14, 0x1ea71119
	v_add_f64 v[16:17], v[16:17], v[24:25]
	v_add_f64 v[18:19], v[18:19], v[26:27]
	s_mov_b32 s2, 0xebaa3ed8
	s_mov_b32 s8, 0xb2365da1
	;; [unrolled: 1-line block ×6, first 2 shown]
	v_add_f64 v[38:39], v[16:17], v[30:31]
	v_add_f64 v[40:41], v[18:19], v[32:33]
	;; [unrolled: 1-line block ×3, first 2 shown]
	v_add_f64 v[16:17], v[30:31], -v[34:35]
	v_add_f64 v[30:31], v[32:33], -v[36:37]
	;; [unrolled: 1-line block ×3, first 2 shown]
	s_mov_b32 s3, 0x3fbedb7d
	s_mov_b32 s9, 0xbfd6b1d8
	v_add_f64 v[48:49], v[38:39], v[34:35]
	v_add_f64 v[40:41], v[40:41], v[36:37]
	;; [unrolled: 1-line block ×5, first 2 shown]
	s_mov_b32 s29, 0xbfe7f3cc
	s_mov_b32 s41, 0xbfef11f4
	;; [unrolled: 1-line block ×3, first 2 shown]
	v_add_f64 v[24:25], v[48:49], v[44:45]
	v_add_f64 v[26:27], v[40:41], v[46:47]
	v_add_f64 v[40:41], v[20:21], -v[52:53]
	v_add_f64 v[48:49], v[12:13], v[73:74]
	v_add_f64 v[44:45], v[12:13], -v[73:74]
	v_add_f64 v[46:47], v[22:23], v[54:55]
	s_mov_b32 s34, s22
	s_mov_b32 s31, 0x3fea55e2
	v_add_f64 v[12:13], v[24:25], v[52:53]
	v_add_f64 v[20:21], v[26:27], v[54:55]
	s_waitcnt lgkmcnt(0)
	v_add_f64 v[24:25], v[6:7], -v[83:84]
	v_add_f64 v[54:55], v[8:9], v[77:78]
	v_add_f64 v[52:53], v[8:9], -v[77:78]
	v_add_f64 v[8:9], v[4:5], v[81:82]
	v_add_f64 v[6:7], v[6:7], v[83:84]
	v_add_f64 v[4:5], v[4:5], -v[81:82]
	v_add_f64 v[12:13], v[12:13], v[73:74]
	v_add_f64 v[14:15], v[20:21], v[75:76]
	v_mul_f64 v[10:11], v[24:25], s[22:23]
	v_mul_f64 v[20:21], v[24:25], s[16:17]
	v_mul_f64 v[26:27], v[24:25], s[0:1]
	v_mul_f64 v[73:74], v[24:25], s[6:7]
	v_mul_f64 v[75:76], v[24:25], s[18:19]
	v_mul_f64 v[24:25], v[24:25], s[36:37]
	v_add_f64 v[12:13], v[12:13], v[77:78]
	v_add_f64 v[14:15], v[14:15], v[79:80]
	v_fma_f64 v[77:78], v[8:9], s[20:21], v[10:11]
	v_fma_f64 v[10:11], v[8:9], s[20:21], -v[10:11]
	v_fma_f64 v[79:80], v[8:9], s[14:15], v[20:21]
	v_fma_f64 v[85:86], v[8:9], s[14:15], -v[20:21]
	s_mov_b32 s30, s16
	v_fma_f64 v[87:88], v[8:9], s[40:41], v[24:25]
	v_add_f64 v[20:21], v[12:13], v[81:82]
	v_add_f64 v[22:23], v[14:15], v[83:84]
	v_fma_f64 v[12:13], v[8:9], s[2:3], v[26:27]
	v_fma_f64 v[14:15], v[8:9], s[2:3], -v[26:27]
	v_fma_f64 v[26:27], v[8:9], s[8:9], v[73:74]
	v_fma_f64 v[73:74], v[8:9], s[8:9], -v[73:74]
	;; [unrolled: 2-line block ×3, first 2 shown]
	v_mul_f64 v[83:84], v[6:7], s[20:21]
	v_fma_f64 v[8:9], v[8:9], s[40:41], -v[24:25]
	v_mul_f64 v[24:25], v[6:7], s[14:15]
	v_mul_f64 v[91:92], v[6:7], s[2:3]
	;; [unrolled: 1-line block ×5, first 2 shown]
	s_mov_b32 s25, 0x3fefc445
	v_fma_f64 v[89:90], v[4:5], s[34:35], v[83:84]
	s_mov_b32 s24, s0
	v_fma_f64 v[93:94], v[4:5], s[30:31], v[24:25]
	v_fma_f64 v[24:25], v[4:5], s[16:17], v[24:25]
	s_mov_b32 s27, 0x3fedeba7
	s_mov_b32 s26, s6
	;; [unrolled: 1-line block ×6, first 2 shown]
	v_fma_f64 v[83:84], v[4:5], s[22:23], v[83:84]
	v_fma_f64 v[97:98], v[4:5], s[24:25], v[91:92]
	;; [unrolled: 1-line block ×9, first 2 shown]
	v_add_f64 v[6:7], v[0:1], v[77:78]
	v_add_f64 v[77:78], v[2:3], v[89:90]
	;; [unrolled: 1-line block ×4, first 2 shown]
	v_mul_f64 v[24:25], v[62:63], s[16:17]
	v_add_f64 v[107:108], v[0:1], v[26:27]
	v_mul_f64 v[26:27], v[60:61], s[14:15]
	v_add_f64 v[109:110], v[0:1], v[73:74]
	;; [unrolled: 2-line block ×4, first 2 shown]
	v_fma_f64 v[73:74], v[54:55], s[14:15], v[24:25]
	v_mul_f64 v[75:76], v[50:51], s[6:7]
	v_fma_f64 v[81:82], v[52:53], s[30:31], v[26:27]
	v_add_f64 v[10:11], v[0:1], v[10:11]
	v_add_f64 v[79:80], v[0:1], v[79:80]
	;; [unrolled: 1-line block ×6, first 2 shown]
	v_fma_f64 v[73:74], v[48:49], s[2:3], v[111:112]
	v_add_f64 v[87:88], v[0:1], v[87:88]
	v_add_f64 v[77:78], v[81:82], v[77:78]
	v_fma_f64 v[81:82], v[44:45], s[24:25], v[115:116]
	v_mul_f64 v[119:120], v[46:47], s[8:9]
	v_add_f64 v[121:122], v[0:1], v[8:9]
	v_mul_f64 v[0:1], v[42:43], s[18:19]
	v_fma_f64 v[8:9], v[54:55], s[14:15], -v[24:25]
	v_add_f64 v[6:7], v[73:74], v[6:7]
	v_fma_f64 v[73:74], v[38:39], s[8:9], v[75:76]
	v_add_f64 v[83:84], v[2:3], v[83:84]
	v_add_f64 v[97:98], v[2:3], v[97:98]
	;; [unrolled: 1-line block ×9, first 2 shown]
	v_fma_f64 v[77:78], v[40:41], s[26:27], v[119:120]
	v_mul_f64 v[81:82], v[36:37], s[28:29]
	v_add_f64 v[123:124], v[2:3], v[4:5]
	v_add_f64 v[2:3], v[73:74], v[6:7]
	v_fma_f64 v[4:5], v[52:53], s[16:17], v[26:27]
	v_fma_f64 v[6:7], v[34:35], s[28:29], v[0:1]
	v_add_f64 v[8:9], v[8:9], v[10:11]
	v_fma_f64 v[10:11], v[48:49], s[2:3], -v[111:112]
	v_add_f64 v[24:25], v[77:78], v[24:25]
	v_fma_f64 v[26:27], v[32:33], s[38:39], v[81:82]
	v_mul_f64 v[73:74], v[30:31], s[36:37]
	v_mul_f64 v[77:78], v[28:29], s[40:41]
	v_add_f64 v[4:5], v[4:5], v[83:84]
	v_fma_f64 v[83:84], v[44:45], s[0:1], v[115:116]
	v_add_f64 v[2:3], v[6:7], v[2:3]
	v_add_f64 v[6:7], v[10:11], v[8:9]
	v_fma_f64 v[8:9], v[38:39], s[8:9], -v[75:76]
	v_add_f64 v[10:11], v[26:27], v[24:25]
	v_fma_f64 v[24:25], v[18:19], s[40:41], v[73:74]
	v_mul_f64 v[75:76], v[62:63], s[6:7]
	v_fma_f64 v[26:27], v[16:17], s[42:43], v[77:78]
	v_add_f64 v[4:5], v[83:84], v[4:5]
	v_fma_f64 v[83:84], v[40:41], s[6:7], v[119:120]
	v_mul_f64 v[111:112], v[60:61], s[8:9]
	v_add_f64 v[6:7], v[8:9], v[6:7]
	v_fma_f64 v[0:1], v[34:35], s[28:29], -v[0:1]
	v_add_f64 v[24:25], v[24:25], v[2:3]
	v_fma_f64 v[2:3], v[54:55], s[8:9], v[75:76]
	v_mul_f64 v[8:9], v[58:59], s[36:37]
	v_add_f64 v[26:27], v[26:27], v[10:11]
	v_add_f64 v[4:5], v[83:84], v[4:5]
	v_fma_f64 v[10:11], v[52:53], s[26:27], v[111:112]
	v_mul_f64 v[83:84], v[56:57], s[40:41]
	v_add_f64 v[0:1], v[0:1], v[6:7]
	v_fma_f64 v[6:7], v[32:33], s[18:19], v[81:82]
	v_add_f64 v[2:3], v[2:3], v[79:80]
	v_fma_f64 v[79:80], v[48:49], s[40:41], v[8:9]
	v_mul_f64 v[81:82], v[50:51], s[38:39]
	v_fma_f64 v[73:74], v[18:19], s[40:41], -v[73:74]
	v_add_f64 v[10:11], v[10:11], v[89:90]
	v_fma_f64 v[89:90], v[44:45], s[42:43], v[83:84]
	v_mul_f64 v[115:116], v[46:47], s[28:29]
	v_add_f64 v[4:5], v[6:7], v[4:5]
	v_fma_f64 v[6:7], v[16:17], s[36:37], v[77:78]
	v_add_f64 v[77:78], v[79:80], v[2:3]
	v_fma_f64 v[79:80], v[38:39], s[28:29], v[81:82]
	v_add_f64 v[0:1], v[73:74], v[0:1]
	v_fma_f64 v[73:74], v[54:55], s[8:9], -v[75:76]
	v_add_f64 v[10:11], v[89:90], v[10:11]
	v_fma_f64 v[75:76], v[40:41], s[18:19], v[115:116]
	v_mul_f64 v[89:90], v[42:43], s[24:25]
	v_mul_f64 v[119:120], v[36:37], s[2:3]
	v_add_f64 v[2:3], v[6:7], v[4:5]
	v_fma_f64 v[6:7], v[52:53], s[6:7], v[111:112]
	v_add_f64 v[4:5], v[79:80], v[77:78]
	v_add_f64 v[73:74], v[73:74], v[85:86]
	v_fma_f64 v[8:9], v[48:49], s[40:41], -v[8:9]
	v_add_f64 v[10:11], v[75:76], v[10:11]
	v_fma_f64 v[75:76], v[34:35], s[2:3], v[89:90]
	v_fma_f64 v[77:78], v[32:33], s[0:1], v[119:120]
	v_mul_f64 v[79:80], v[30:31], s[34:35]
	v_mul_f64 v[85:86], v[28:29], s[20:21]
	v_add_f64 v[6:7], v[6:7], v[93:94]
	v_fma_f64 v[83:84], v[44:45], s[36:37], v[83:84]
	v_add_f64 v[8:9], v[8:9], v[73:74]
	v_fma_f64 v[73:74], v[38:39], s[28:29], -v[81:82]
	v_add_f64 v[4:5], v[75:76], v[4:5]
	v_add_f64 v[10:11], v[77:78], v[10:11]
	v_fma_f64 v[75:76], v[18:19], s[20:21], v[79:80]
	v_mul_f64 v[77:78], v[62:63], s[36:37]
	v_fma_f64 v[81:82], v[16:17], s[22:23], v[85:86]
	v_add_f64 v[6:7], v[83:84], v[6:7]
	v_fma_f64 v[83:84], v[40:41], s[38:39], v[115:116]
	v_add_f64 v[8:9], v[73:74], v[8:9]
	v_fma_f64 v[89:90], v[34:35], s[2:3], -v[89:90]
	v_mul_f64 v[93:94], v[60:61], s[40:41]
	v_add_f64 v[73:74], v[75:76], v[4:5]
	v_fma_f64 v[4:5], v[54:55], s[40:41], v[77:78]
	v_mul_f64 v[111:112], v[58:59], s[26:27]
	v_add_f64 v[75:76], v[81:82], v[10:11]
	v_add_f64 v[6:7], v[83:84], v[6:7]
	v_fma_f64 v[10:11], v[32:33], s[24:25], v[119:120]
	v_add_f64 v[8:9], v[89:90], v[8:9]
	v_fma_f64 v[81:82], v[52:53], s[42:43], v[93:94]
	v_mul_f64 v[83:84], v[56:57], s[8:9]
	v_add_f64 v[4:5], v[4:5], v[12:13]
	v_fma_f64 v[12:13], v[48:49], s[8:9], v[111:112]
	v_mul_f64 v[89:90], v[50:51], s[34:35]
	v_fma_f64 v[79:80], v[18:19], s[20:21], -v[79:80]
	v_add_f64 v[6:7], v[10:11], v[6:7]
	v_fma_f64 v[10:11], v[16:17], s[34:35], v[85:86]
	v_add_f64 v[81:82], v[81:82], v[97:98]
	v_fma_f64 v[85:86], v[44:45], s[6:7], v[83:84]
	v_mul_f64 v[97:98], v[46:47], s[20:21]
	v_add_f64 v[12:13], v[12:13], v[4:5]
	v_fma_f64 v[115:116], v[38:39], s[20:21], v[89:90]
	v_add_f64 v[4:5], v[79:80], v[8:9]
	v_mul_f64 v[8:9], v[42:43], s[16:17]
	v_add_f64 v[6:7], v[10:11], v[6:7]
	v_fma_f64 v[10:11], v[54:55], s[40:41], -v[77:78]
	v_add_f64 v[77:78], v[85:86], v[81:82]
	v_fma_f64 v[79:80], v[40:41], s[22:23], v[97:98]
	v_mul_f64 v[81:82], v[36:37], s[14:15]
	v_add_f64 v[12:13], v[115:116], v[12:13]
	v_fma_f64 v[85:86], v[52:53], s[36:37], v[93:94]
	v_fma_f64 v[93:94], v[34:35], s[14:15], v[8:9]
	v_mul_f64 v[115:116], v[30:31], s[18:19]
	v_add_f64 v[10:11], v[10:11], v[14:15]
	v_fma_f64 v[14:15], v[48:49], s[8:9], -v[111:112]
	v_add_f64 v[77:78], v[79:80], v[77:78]
	v_fma_f64 v[79:80], v[32:33], s[30:31], v[81:82]
	v_mul_f64 v[111:112], v[28:29], s[28:29]
	v_add_f64 v[85:86], v[85:86], v[91:92]
	v_fma_f64 v[83:84], v[44:45], s[26:27], v[83:84]
	v_add_f64 v[12:13], v[93:94], v[12:13]
	v_fma_f64 v[91:92], v[18:19], s[28:29], v[115:116]
	v_add_f64 v[10:11], v[14:15], v[10:11]
	v_fma_f64 v[14:15], v[38:39], s[20:21], -v[89:90]
	v_mul_f64 v[89:90], v[62:63], s[38:39]
	v_add_f64 v[79:80], v[79:80], v[77:78]
	v_fma_f64 v[93:94], v[16:17], s[38:39], v[111:112]
	v_add_f64 v[83:84], v[83:84], v[85:86]
	v_fma_f64 v[85:86], v[40:41], s[34:35], v[97:98]
	v_add_f64 v[77:78], v[91:92], v[12:13]
	v_mul_f64 v[12:13], v[60:61], s[28:29]
	v_add_f64 v[10:11], v[14:15], v[10:11]
	v_fma_f64 v[8:9], v[34:35], s[14:15], -v[8:9]
	v_fma_f64 v[14:15], v[54:55], s[28:29], v[89:90]
	v_mul_f64 v[91:92], v[58:59], s[34:35]
	v_add_f64 v[79:80], v[93:94], v[79:80]
	v_add_f64 v[83:84], v[85:86], v[83:84]
	v_fma_f64 v[81:82], v[32:33], s[16:17], v[81:82]
	v_fma_f64 v[85:86], v[52:53], s[18:19], v[12:13]
	v_mul_f64 v[93:94], v[56:57], s[20:21]
	v_add_f64 v[8:9], v[8:9], v[10:11]
	v_add_f64 v[10:11], v[14:15], v[107:108]
	v_fma_f64 v[14:15], v[48:49], s[20:21], v[91:92]
	v_mul_f64 v[97:98], v[50:51], s[0:1]
	v_fma_f64 v[107:108], v[18:19], s[28:29], -v[115:116]
	v_add_f64 v[81:82], v[81:82], v[83:84]
	v_add_f64 v[83:84], v[85:86], v[101:102]
	v_fma_f64 v[85:86], v[44:45], s[22:23], v[93:94]
	v_mul_f64 v[101:102], v[46:47], s[2:3]
	v_fma_f64 v[111:112], v[16:17], s[18:19], v[111:112]
	v_add_f64 v[14:15], v[14:15], v[10:11]
	v_fma_f64 v[115:116], v[38:39], s[2:3], v[97:98]
	v_add_f64 v[8:9], v[107:108], v[8:9]
	v_mul_f64 v[107:108], v[42:43], s[42:43]
	v_fma_f64 v[89:90], v[54:55], s[28:29], -v[89:90]
	v_add_f64 v[83:84], v[85:86], v[83:84]
	v_fma_f64 v[85:86], v[40:41], s[24:25], v[101:102]
	v_mul_f64 v[119:120], v[36:37], s[40:41]
	v_add_f64 v[10:11], v[111:112], v[81:82]
	v_add_f64 v[14:15], v[115:116], v[14:15]
	v_fma_f64 v[12:13], v[52:53], s[38:39], v[12:13]
	v_fma_f64 v[81:82], v[34:35], s[40:41], v[107:108]
	v_add_f64 v[89:90], v[89:90], v[109:110]
	v_fma_f64 v[91:92], v[48:49], s[20:21], -v[91:92]
	v_add_f64 v[83:84], v[85:86], v[83:84]
	v_fma_f64 v[85:86], v[32:33], s[36:37], v[119:120]
	v_mul_f64 v[109:110], v[30:31], s[30:31]
	v_mul_f64 v[111:112], v[28:29], s[14:15]
	v_add_f64 v[12:13], v[12:13], v[95:96]
	v_fma_f64 v[93:94], v[44:45], s[34:35], v[93:94]
	v_add_f64 v[14:15], v[81:82], v[14:15]
	v_add_f64 v[81:82], v[91:92], v[89:90]
	v_fma_f64 v[89:90], v[38:39], s[2:3], -v[97:98]
	v_add_f64 v[83:84], v[85:86], v[83:84]
	v_fma_f64 v[85:86], v[18:19], s[14:15], v[109:110]
	v_fma_f64 v[91:92], v[16:17], s[16:17], v[111:112]
	v_mul_f64 v[95:96], v[62:63], s[24:25]
	v_add_f64 v[12:13], v[93:94], v[12:13]
	v_fma_f64 v[93:94], v[40:41], s[0:1], v[101:102]
	v_mul_f64 v[97:98], v[60:61], s[2:3]
	v_add_f64 v[89:90], v[89:90], v[81:82]
	v_fma_f64 v[101:102], v[34:35], s[40:41], -v[107:108]
	v_add_f64 v[81:82], v[85:86], v[14:15]
	v_add_f64 v[83:84], v[91:92], v[83:84]
	v_fma_f64 v[14:15], v[54:55], s[2:3], v[95:96]
	v_mul_f64 v[85:86], v[58:59], s[16:17]
	v_add_f64 v[12:13], v[93:94], v[12:13]
	v_fma_f64 v[91:92], v[52:53], s[0:1], v[97:98]
	v_mul_f64 v[93:94], v[56:57], s[14:15]
	v_add_f64 v[89:90], v[101:102], v[89:90]
	v_fma_f64 v[101:102], v[32:33], s[42:43], v[119:120]
	v_fma_f64 v[107:108], v[18:19], s[14:15], -v[109:110]
	v_add_f64 v[14:15], v[14:15], v[113:114]
	v_fma_f64 v[109:110], v[48:49], s[14:15], v[85:86]
	v_mul_f64 v[115:116], v[46:47], s[40:41]
	v_add_f64 v[91:92], v[91:92], v[103:104]
	v_fma_f64 v[103:104], v[44:45], s[30:31], v[93:94]
	v_fma_f64 v[111:112], v[16:17], s[30:31], v[111:112]
	v_add_f64 v[101:102], v[101:102], v[12:13]
	v_add_f64 v[12:13], v[107:108], v[89:90]
	v_fma_f64 v[97:98], v[52:53], s[24:25], v[97:98]
	v_add_f64 v[89:90], v[109:110], v[14:15]
	v_mul_f64 v[62:63], v[62:63], s[34:35]
	v_fma_f64 v[95:96], v[54:55], s[2:3], -v[95:96]
	v_add_f64 v[91:92], v[103:104], v[91:92]
	v_fma_f64 v[103:104], v[40:41], s[36:37], v[115:116]
	v_add_f64 v[14:15], v[111:112], v[101:102]
	v_mul_f64 v[101:102], v[36:37], s[20:21]
	v_add_f64 v[97:98], v[97:98], v[99:100]
	v_fma_f64 v[93:94], v[44:45], s[16:17], v[93:94]
	v_fma_f64 v[99:100], v[54:55], s[20:21], v[62:63]
	v_mul_f64 v[60:61], v[60:61], s[20:21]
	v_mul_f64 v[58:59], v[58:59], s[18:19]
	v_add_f64 v[91:92], v[103:104], v[91:92]
	v_mul_f64 v[113:114], v[50:51], s[42:43]
	v_fma_f64 v[103:104], v[32:33], s[22:23], v[101:102]
	v_add_f64 v[95:96], v[95:96], v[117:118]
	v_fma_f64 v[85:86], v[48:49], s[14:15], -v[85:86]
	v_add_f64 v[93:94], v[93:94], v[97:98]
	v_fma_f64 v[97:98], v[40:41], s[42:43], v[115:116]
	v_add_f64 v[87:88], v[99:100], v[87:88]
	v_fma_f64 v[99:100], v[52:53], s[22:23], v[60:61]
	v_mul_f64 v[56:57], v[56:57], s[28:29]
	v_add_f64 v[91:92], v[103:104], v[91:92]
	v_fma_f64 v[103:104], v[48:49], s[28:29], v[58:59]
	v_mul_f64 v[50:51], v[50:51], s[30:31]
	v_fma_f64 v[54:55], v[54:55], s[20:21], -v[62:63]
	v_fma_f64 v[52:53], v[52:53], s[34:35], v[60:61]
	v_add_f64 v[85:86], v[85:86], v[95:96]
	v_fma_f64 v[95:96], v[38:39], s[40:41], -v[113:114]
	v_add_f64 v[62:63], v[97:98], v[93:94]
	v_fma_f64 v[97:98], v[44:45], s[38:39], v[56:57]
	v_add_f64 v[87:88], v[103:104], v[87:88]
	v_fma_f64 v[60:61], v[38:39], s[14:15], v[50:51]
	v_add_f64 v[54:55], v[54:55], v[121:122]
	v_mul_f64 v[46:47], v[46:47], s[14:15]
	v_fma_f64 v[48:49], v[48:49], s[28:29], -v[58:59]
	v_add_f64 v[52:53], v[52:53], v[123:124]
	v_fma_f64 v[44:45], v[44:45], s[18:19], v[56:57]
	v_mul_f64 v[109:110], v[42:43], s[34:35]
	v_add_f64 v[85:86], v[95:96], v[85:86]
	v_add_f64 v[95:96], v[99:100], v[105:106]
	v_mul_f64 v[42:43], v[42:43], s[6:7]
	v_fma_f64 v[107:108], v[38:39], s[40:41], v[113:114]
	v_add_f64 v[56:57], v[60:61], v[87:88]
	v_fma_f64 v[60:61], v[40:41], s[16:17], v[46:47]
	v_add_f64 v[48:49], v[48:49], v[54:55]
	v_fma_f64 v[38:39], v[38:39], s[14:15], -v[50:51]
	v_add_f64 v[44:45], v[44:45], v[52:53]
	v_fma_f64 v[40:41], v[40:41], s[30:31], v[46:47]
	v_add_f64 v[95:96], v[97:98], v[95:96]
	v_fma_f64 v[54:55], v[34:35], s[8:9], v[42:43]
	v_mul_f64 v[36:37], v[36:37], s[8:9]
	v_add_f64 v[89:90], v[107:108], v[89:90]
	v_fma_f64 v[107:108], v[34:35], s[20:21], v[109:110]
	v_fma_f64 v[93:94], v[34:35], s[20:21], -v[109:110]
	v_add_f64 v[38:39], v[38:39], v[48:49]
	v_fma_f64 v[34:35], v[34:35], s[8:9], -v[42:43]
	v_mul_f64 v[42:43], v[30:31], s[6:7]
	v_add_f64 v[40:41], v[40:41], v[44:45]
	v_mul_f64 v[44:45], v[28:29], s[8:9]
	v_fma_f64 v[58:59], v[32:33], s[34:35], v[101:102]
	v_add_f64 v[52:53], v[60:61], v[95:96]
	v_add_f64 v[54:55], v[54:55], v[56:57]
	v_fma_f64 v[56:57], v[32:33], s[26:27], v[36:37]
	v_fma_f64 v[32:33], v[32:33], s[6:7], v[36:37]
	v_mul_f64 v[30:31], v[30:31], s[24:25]
	v_mul_f64 v[28:29], v[28:29], s[2:3]
	v_add_f64 v[89:90], v[107:108], v[89:90]
	v_add_f64 v[38:39], v[34:35], v[38:39]
	v_fma_f64 v[34:35], v[18:19], s[8:9], v[42:43]
	v_fma_f64 v[48:49], v[16:17], s[26:27], v[44:45]
	v_add_f64 v[46:47], v[58:59], v[62:63]
	v_add_f64 v[36:37], v[56:57], v[52:53]
	v_add_f64 v[40:41], v[32:33], v[40:41]
	v_fma_f64 v[32:33], v[16:17], s[6:7], v[44:45]
	v_fma_f64 v[44:45], v[18:19], s[2:3], v[30:31]
	v_fma_f64 v[52:53], v[16:17], s[0:1], v[28:29]
	v_fma_f64 v[56:57], v[18:19], s[2:3], -v[30:31]
	v_fma_f64 v[58:59], v[16:17], s[24:25], v[28:29]
	v_add_f64 v[50:51], v[93:94], v[85:86]
	v_fma_f64 v[42:43], v[18:19], s[8:9], -v[42:43]
	v_add_f64 v[28:29], v[34:35], v[89:90]
	v_add_f64 v[30:31], v[48:49], v[91:92]
	;; [unrolled: 1-line block ×7, first 2 shown]
	v_mul_u32_u24_e32 v40, 0xd0, v66
	v_add3_u32 v40, 0, v40, v71
	v_add_f64 v[16:17], v[42:43], v[50:51]
	s_waitcnt lgkmcnt(0)
	; wave barrier
	ds_write_b128 v40, v[20:23]
	ds_write_b128 v40, v[24:27] offset:16
	ds_write_b128 v40, v[73:76] offset:32
	;; [unrolled: 1-line block ×12, first 2 shown]
	s_waitcnt lgkmcnt(0)
	; wave barrier
	s_waitcnt lgkmcnt(0)
	ds_read_b128 v[32:35], v72
	ds_read_b128 v[36:39], v67 offset:208
	ds_read_b128 v[60:63], v67 offset:416
	ds_read_b128 v[56:59], v67 offset:624
	ds_read_b128 v[48:51], v67 offset:832
	ds_read_b128 v[40:43], v67 offset:1040
	ds_read_b128 v[52:55], v67 offset:1248
	ds_read_b128 v[44:47], v67 offset:1456
	v_cmp_gt_u32_e64 s[0:1], 5, v66
                                        ; implicit-def: $vgpr26_vgpr27
                                        ; implicit-def: $vgpr30_vgpr31
                                        ; implicit-def: $vgpr22_vgpr23
	s_and_saveexec_b64 s[2:3], s[0:1]
	s_cbranch_execz .LBB0_23
; %bb.22:
	ds_read_b128 v[16:19], v67 offset:128
	ds_read_b128 v[12:15], v67 offset:336
	;; [unrolled: 1-line block ×8, first 2 shown]
.LBB0_23:
	s_or_b64 exec, exec, s[2:3]
	v_mul_u32_u24_e32 v71, 7, v66
	v_lshlrev_b32_e32 v71, 4, v71
	global_load_dwordx4 v[72:75], v71, s[12:13]
	global_load_dwordx4 v[76:79], v71, s[12:13] offset:16
	global_load_dwordx4 v[80:83], v71, s[12:13] offset:32
	;; [unrolled: 1-line block ×6, first 2 shown]
	s_mov_b32 s6, 0x667f3bcd
	s_mov_b32 s7, 0xbfe6a09e
	s_mov_b32 s9, 0x3fe6a09e
	s_mov_b32 s8, s6
	v_or_b32_e32 v71, 8, v66
	v_cmp_gt_u32_e64 s[2:3], 13, v71
	s_waitcnt lgkmcnt(0)
	; wave barrier
	s_waitcnt vmcnt(6) lgkmcnt(0)
	v_mul_f64 v[100:101], v[38:39], v[74:75]
	v_mul_f64 v[74:75], v[36:37], v[74:75]
	s_waitcnt vmcnt(5)
	v_mul_f64 v[102:103], v[62:63], v[78:79]
	v_mul_f64 v[78:79], v[60:61], v[78:79]
	s_waitcnt vmcnt(4)
	;; [unrolled: 3-line block ×6, first 2 shown]
	v_mul_f64 v[112:113], v[46:47], v[98:99]
	v_mul_f64 v[98:99], v[44:45], v[98:99]
	v_fma_f64 v[36:37], v[36:37], v[72:73], v[100:101]
	v_fma_f64 v[38:39], v[38:39], v[72:73], -v[74:75]
	v_fma_f64 v[60:61], v[60:61], v[76:77], v[102:103]
	v_fma_f64 v[62:63], v[62:63], v[76:77], -v[78:79]
	;; [unrolled: 2-line block ×7, first 2 shown]
	v_add_f64 v[48:49], v[32:33], -v[48:49]
	v_add_f64 v[50:51], v[34:35], -v[50:51]
	;; [unrolled: 1-line block ×8, first 2 shown]
	v_fma_f64 v[32:33], v[32:33], 2.0, -v[48:49]
	v_fma_f64 v[34:35], v[34:35], 2.0, -v[50:51]
	v_fma_f64 v[60:61], v[60:61], 2.0, -v[52:53]
	v_fma_f64 v[62:63], v[62:63], 2.0, -v[54:55]
	v_fma_f64 v[36:37], v[36:37], 2.0, -v[40:41]
	v_fma_f64 v[38:39], v[38:39], 2.0, -v[42:43]
	v_add_f64 v[54:55], v[48:49], v[54:55]
	v_add_f64 v[72:73], v[50:51], -v[52:53]
	v_fma_f64 v[52:53], v[56:57], 2.0, -v[44:45]
	v_fma_f64 v[56:57], v[58:59], 2.0, -v[46:47]
	v_add_f64 v[46:47], v[40:41], v[46:47]
	v_add_f64 v[44:45], v[42:43], -v[44:45]
	v_add_f64 v[58:59], v[32:33], -v[60:61]
	;; [unrolled: 1-line block ×3, first 2 shown]
	v_fma_f64 v[62:63], v[48:49], 2.0, -v[54:55]
	v_fma_f64 v[74:75], v[50:51], 2.0, -v[72:73]
	v_add_f64 v[48:49], v[36:37], -v[52:53]
	v_add_f64 v[50:51], v[38:39], -v[56:57]
	v_fma_f64 v[52:53], v[40:41], 2.0, -v[46:47]
	v_fma_f64 v[56:57], v[42:43], 2.0, -v[44:45]
	v_fma_f64 v[40:41], v[46:47], s[8:9], v[54:55]
	v_fma_f64 v[42:43], v[44:45], s[8:9], v[72:73]
	v_fma_f64 v[76:77], v[32:33], 2.0, -v[58:59]
	v_fma_f64 v[78:79], v[34:35], 2.0, -v[60:61]
	;; [unrolled: 1-line block ×4, first 2 shown]
	v_fma_f64 v[84:85], v[52:53], s[6:7], v[62:63]
	v_fma_f64 v[86:87], v[56:57], s[6:7], v[74:75]
	v_add_f64 v[32:33], v[58:59], v[50:51]
	v_add_f64 v[34:35], v[60:61], -v[48:49]
	v_fma_f64 v[36:37], v[44:45], s[8:9], v[40:41]
	v_fma_f64 v[38:39], v[46:47], s[6:7], v[42:43]
	v_add_f64 v[40:41], v[76:77], -v[80:81]
	v_add_f64 v[42:43], v[78:79], -v[82:83]
	v_fma_f64 v[44:45], v[56:57], s[8:9], v[84:85]
	v_fma_f64 v[46:47], v[52:53], s[6:7], v[86:87]
	v_fma_f64 v[48:49], v[58:59], 2.0, -v[32:33]
	v_fma_f64 v[50:51], v[60:61], 2.0, -v[34:35]
	;; [unrolled: 1-line block ×8, first 2 shown]
	ds_write_b128 v67, v[32:35] offset:1248
	ds_write_b128 v67, v[48:51] offset:416
	;; [unrolled: 1-line block ×5, first 2 shown]
	ds_write_b128 v67, v[56:59]
	ds_write_b128 v67, v[60:63] offset:208
	ds_write_b128 v67, v[36:39] offset:1456
	s_and_saveexec_b64 s[14:15], s[0:1]
	s_cbranch_execz .LBB0_25
; %bb.24:
	v_add_u32_e32 v32, -5, v66
	v_cndmask_b32_e64 v32, v32, v71, s[2:3]
	v_mul_i32_i24_e32 v32, 7, v32
	v_mov_b32_e32 v33, 0
	v_lshlrev_b64 v[32:33], 4, v[32:33]
	v_mov_b32_e32 v34, s13
	v_add_co_u32_e64 v60, s[0:1], s12, v32
	v_addc_co_u32_e64 v61, s[0:1], v34, v33, s[0:1]
	global_load_dwordx4 v[32:35], v[60:61], off offset:48
	global_load_dwordx4 v[36:39], v[60:61], off offset:16
	;; [unrolled: 1-line block ×3, first 2 shown]
	global_load_dwordx4 v[44:47], v[60:61], off
	global_load_dwordx4 v[48:51], v[60:61], off offset:64
	global_load_dwordx4 v[52:55], v[60:61], off offset:32
	global_load_dwordx4 v[56:59], v[60:61], off offset:96
	s_waitcnt vmcnt(6)
	v_mul_f64 v[60:61], v[0:1], v[34:35]
	s_waitcnt vmcnt(5)
	v_mul_f64 v[62:63], v[10:11], v[38:39]
	;; [unrolled: 2-line block ×7, first 2 shown]
	v_mul_f64 v[46:47], v[14:15], v[46:47]
	v_mul_f64 v[50:51], v[22:23], v[50:51]
	;; [unrolled: 1-line block ×7, first 2 shown]
	v_fma_f64 v[2:3], v[2:3], v[32:33], -v[60:61]
	v_fma_f64 v[8:9], v[8:9], v[36:37], v[62:63]
	v_fma_f64 v[24:25], v[24:25], v[40:41], v[71:72]
	v_fma_f64 v[14:15], v[14:15], v[44:45], -v[73:74]
	v_fma_f64 v[22:23], v[22:23], v[48:49], -v[75:76]
	v_fma_f64 v[4:5], v[4:5], v[52:53], v[77:78]
	v_fma_f64 v[28:29], v[28:29], v[56:57], v[79:80]
	;; [unrolled: 1-line block ×4, first 2 shown]
	v_fma_f64 v[6:7], v[6:7], v[52:53], -v[54:55]
	v_fma_f64 v[10:11], v[10:11], v[36:37], -v[38:39]
	;; [unrolled: 1-line block ×4, first 2 shown]
	v_fma_f64 v[0:1], v[0:1], v[32:33], v[34:35]
	v_add_f64 v[2:3], v[18:19], -v[2:3]
	v_add_f64 v[24:25], v[8:9], -v[24:25]
	;; [unrolled: 1-line block ×8, first 2 shown]
	v_fma_f64 v[18:19], v[18:19], 2.0, -v[2:3]
	v_add_f64 v[32:33], v[2:3], -v[24:25]
	v_fma_f64 v[14:15], v[14:15], 2.0, -v[22:23]
	v_add_f64 v[34:35], v[22:23], -v[28:29]
	v_fma_f64 v[12:13], v[12:13], 2.0, -v[20:21]
	v_fma_f64 v[10:11], v[10:11], 2.0, -v[26:27]
	;; [unrolled: 1-line block ×6, first 2 shown]
	v_add_f64 v[24:25], v[20:21], v[30:31]
	v_add_f64 v[26:27], v[0:1], v[26:27]
	v_fma_f64 v[30:31], v[2:3], 2.0, -v[32:33]
	v_add_f64 v[28:29], v[18:19], -v[10:11]
	v_fma_f64 v[22:23], v[22:23], 2.0, -v[34:35]
	v_add_f64 v[4:5], v[12:13], -v[4:5]
	v_add_f64 v[10:11], v[14:15], -v[6:7]
	;; [unrolled: 1-line block ×3, first 2 shown]
	v_fma_f64 v[8:9], v[20:21], 2.0, -v[24:25]
	v_fma_f64 v[38:39], v[0:1], 2.0, -v[26:27]
	v_fma_f64 v[0:1], v[34:35], s[8:9], v[32:33]
	v_fma_f64 v[20:21], v[24:25], s[8:9], v[26:27]
	;; [unrolled: 1-line block ×3, first 2 shown]
	v_fma_f64 v[42:43], v[18:19], 2.0, -v[28:29]
	v_fma_f64 v[14:15], v[14:15], 2.0, -v[10:11]
	;; [unrolled: 1-line block ×4, first 2 shown]
	v_fma_f64 v[16:17], v[8:9], s[6:7], v[38:39]
	v_add_f64 v[6:7], v[28:29], -v[4:5]
	v_add_f64 v[4:5], v[36:37], v[10:11]
	v_fma_f64 v[2:3], v[24:25], s[6:7], v[0:1]
	v_fma_f64 v[0:1], v[34:35], s[8:9], v[20:21]
	;; [unrolled: 1-line block ×3, first 2 shown]
	v_add_f64 v[14:15], v[42:43], -v[14:15]
	v_add_f64 v[12:13], v[44:45], -v[12:13]
	v_fma_f64 v[8:9], v[22:23], s[8:9], v[16:17]
	v_fma_f64 v[22:23], v[28:29], 2.0, -v[6:7]
	v_fma_f64 v[20:21], v[36:37], 2.0, -v[4:5]
	;; [unrolled: 1-line block ×8, first 2 shown]
	ds_write_b128 v67, v[4:7] offset:1376
	ds_write_b128 v67, v[20:23] offset:544
	;; [unrolled: 1-line block ×8, first 2 shown]
.LBB0_25:
	s_or_b64 exec, exec, s[14:15]
	s_waitcnt lgkmcnt(0)
	; wave barrier
	s_waitcnt lgkmcnt(0)
	s_and_saveexec_b64 s[0:1], vcc
	s_cbranch_execz .LBB0_27
; %bb.26:
	v_mul_lo_u32 v0, s5, v68
	v_mul_lo_u32 v1, s4, v69
	v_mad_u64_u32 v[4:5], s[0:1], s4, v68, 0
	v_mov_b32_e32 v6, s11
	v_lshl_add_u32 v10, v66, 4, v70
	v_add3_u32 v5, v5, v1, v0
	v_lshlrev_b64 v[4:5], 4, v[4:5]
	v_mov_b32_e32 v67, 0
	v_add_co_u32_e32 v7, vcc, s10, v4
	v_addc_co_u32_e32 v6, vcc, v6, v5, vcc
	v_lshlrev_b64 v[4:5], 4, v[64:65]
	ds_read_b128 v[0:3], v10
	v_add_co_u32_e32 v11, vcc, v7, v4
	v_addc_co_u32_e32 v12, vcc, v6, v5, vcc
	v_lshlrev_b64 v[4:5], 4, v[66:67]
	v_add_co_u32_e32 v8, vcc, v11, v4
	v_addc_co_u32_e32 v9, vcc, v12, v5, vcc
	ds_read_b128 v[4:7], v10 offset:128
	s_waitcnt lgkmcnt(1)
	global_store_dwordx4 v[8:9], v[0:3], off
	s_nop 0
	v_add_u32_e32 v0, 8, v66
	v_mov_b32_e32 v1, v67
	v_lshlrev_b64 v[0:1], 4, v[0:1]
	v_add_co_u32_e32 v0, vcc, v11, v0
	v_addc_co_u32_e32 v1, vcc, v12, v1, vcc
	s_waitcnt lgkmcnt(0)
	global_store_dwordx4 v[0:1], v[4:7], off
	ds_read_b128 v[0:3], v10 offset:256
	v_add_u32_e32 v4, 16, v66
	v_mov_b32_e32 v5, v67
	v_lshlrev_b64 v[4:5], 4, v[4:5]
	v_add_co_u32_e32 v8, vcc, v11, v4
	v_addc_co_u32_e32 v9, vcc, v12, v5, vcc
	ds_read_b128 v[4:7], v10 offset:384
	s_waitcnt lgkmcnt(1)
	global_store_dwordx4 v[8:9], v[0:3], off
	s_nop 0
	v_add_u32_e32 v0, 24, v66
	v_mov_b32_e32 v1, v67
	v_lshlrev_b64 v[0:1], 4, v[0:1]
	v_add_co_u32_e32 v0, vcc, v11, v0
	v_addc_co_u32_e32 v1, vcc, v12, v1, vcc
	s_waitcnt lgkmcnt(0)
	global_store_dwordx4 v[0:1], v[4:7], off
	ds_read_b128 v[0:3], v10 offset:512
	v_add_u32_e32 v4, 32, v66
	v_mov_b32_e32 v5, v67
	v_lshlrev_b64 v[4:5], 4, v[4:5]
	v_add_co_u32_e32 v8, vcc, v11, v4
	v_addc_co_u32_e32 v9, vcc, v12, v5, vcc
	ds_read_b128 v[4:7], v10 offset:640
	s_waitcnt lgkmcnt(1)
	global_store_dwordx4 v[8:9], v[0:3], off
	s_nop 0
	v_add_u32_e32 v0, 40, v66
	v_mov_b32_e32 v1, v67
	v_lshlrev_b64 v[0:1], 4, v[0:1]
	v_add_co_u32_e32 v0, vcc, v11, v0
	v_addc_co_u32_e32 v1, vcc, v12, v1, vcc
	s_waitcnt lgkmcnt(0)
	global_store_dwordx4 v[0:1], v[4:7], off
	ds_read_b128 v[0:3], v10 offset:768
	v_add_u32_e32 v4, 48, v66
	v_mov_b32_e32 v5, v67
	v_lshlrev_b64 v[4:5], 4, v[4:5]
	v_add_co_u32_e32 v8, vcc, v11, v4
	v_addc_co_u32_e32 v9, vcc, v12, v5, vcc
	ds_read_b128 v[4:7], v10 offset:896
	s_waitcnt lgkmcnt(1)
	global_store_dwordx4 v[8:9], v[0:3], off
	s_nop 0
	v_add_u32_e32 v0, 56, v66
	v_mov_b32_e32 v1, v67
	v_lshlrev_b64 v[0:1], 4, v[0:1]
	v_add_co_u32_e32 v0, vcc, v11, v0
	v_addc_co_u32_e32 v1, vcc, v12, v1, vcc
	s_waitcnt lgkmcnt(0)
	global_store_dwordx4 v[0:1], v[4:7], off
	ds_read_b128 v[0:3], v10 offset:1024
	v_add_u32_e32 v4, 64, v66
	v_mov_b32_e32 v5, v67
	v_lshlrev_b64 v[4:5], 4, v[4:5]
	v_add_co_u32_e32 v8, vcc, v11, v4
	v_addc_co_u32_e32 v9, vcc, v12, v5, vcc
	ds_read_b128 v[4:7], v10 offset:1152
	s_waitcnt lgkmcnt(1)
	global_store_dwordx4 v[8:9], v[0:3], off
	s_nop 0
	v_add_u32_e32 v0, 0x48, v66
	v_mov_b32_e32 v1, v67
	v_lshlrev_b64 v[0:1], 4, v[0:1]
	v_add_co_u32_e32 v0, vcc, v11, v0
	v_addc_co_u32_e32 v1, vcc, v12, v1, vcc
	s_waitcnt lgkmcnt(0)
	global_store_dwordx4 v[0:1], v[4:7], off
	ds_read_b128 v[0:3], v10 offset:1280
	v_add_u32_e32 v4, 0x50, v66
	v_mov_b32_e32 v5, v67
	v_lshlrev_b64 v[4:5], 4, v[4:5]
	v_add_co_u32_e32 v8, vcc, v11, v4
	v_addc_co_u32_e32 v9, vcc, v12, v5, vcc
	ds_read_b128 v[4:7], v10 offset:1408
	s_waitcnt lgkmcnt(1)
	global_store_dwordx4 v[8:9], v[0:3], off
	s_nop 0
	v_add_u32_e32 v0, 0x58, v66
	v_mov_b32_e32 v1, v67
	v_lshlrev_b64 v[0:1], 4, v[0:1]
	v_add_u32_e32 v66, 0x60, v66
	v_add_co_u32_e32 v0, vcc, v11, v0
	v_addc_co_u32_e32 v1, vcc, v12, v1, vcc
	s_waitcnt lgkmcnt(0)
	global_store_dwordx4 v[0:1], v[4:7], off
	ds_read_b128 v[0:3], v10 offset:1536
	v_lshlrev_b64 v[4:5], 4, v[66:67]
	v_add_co_u32_e32 v4, vcc, v11, v4
	v_addc_co_u32_e32 v5, vcc, v12, v5, vcc
	s_waitcnt lgkmcnt(0)
	global_store_dwordx4 v[4:5], v[0:3], off
.LBB0_27:
	s_endpgm
	.section	.rodata,"a",@progbits
	.p2align	6, 0x0
	.amdhsa_kernel fft_rtc_back_len104_factors_13_8_wgs_64_tpt_8_halfLds_dp_op_CI_CI_unitstride_sbrr_C2R_dirReg
		.amdhsa_group_segment_fixed_size 0
		.amdhsa_private_segment_fixed_size 0
		.amdhsa_kernarg_size 104
		.amdhsa_user_sgpr_count 6
		.amdhsa_user_sgpr_private_segment_buffer 1
		.amdhsa_user_sgpr_dispatch_ptr 0
		.amdhsa_user_sgpr_queue_ptr 0
		.amdhsa_user_sgpr_kernarg_segment_ptr 1
		.amdhsa_user_sgpr_dispatch_id 0
		.amdhsa_user_sgpr_flat_scratch_init 0
		.amdhsa_user_sgpr_private_segment_size 0
		.amdhsa_uses_dynamic_stack 0
		.amdhsa_system_sgpr_private_segment_wavefront_offset 0
		.amdhsa_system_sgpr_workgroup_id_x 1
		.amdhsa_system_sgpr_workgroup_id_y 0
		.amdhsa_system_sgpr_workgroup_id_z 0
		.amdhsa_system_sgpr_workgroup_info 0
		.amdhsa_system_vgpr_workitem_id 0
		.amdhsa_next_free_vgpr 125
		.amdhsa_next_free_sgpr 44
		.amdhsa_reserve_vcc 1
		.amdhsa_reserve_flat_scratch 0
		.amdhsa_float_round_mode_32 0
		.amdhsa_float_round_mode_16_64 0
		.amdhsa_float_denorm_mode_32 3
		.amdhsa_float_denorm_mode_16_64 3
		.amdhsa_dx10_clamp 1
		.amdhsa_ieee_mode 1
		.amdhsa_fp16_overflow 0
		.amdhsa_exception_fp_ieee_invalid_op 0
		.amdhsa_exception_fp_denorm_src 0
		.amdhsa_exception_fp_ieee_div_zero 0
		.amdhsa_exception_fp_ieee_overflow 0
		.amdhsa_exception_fp_ieee_underflow 0
		.amdhsa_exception_fp_ieee_inexact 0
		.amdhsa_exception_int_div_zero 0
	.end_amdhsa_kernel
	.text
.Lfunc_end0:
	.size	fft_rtc_back_len104_factors_13_8_wgs_64_tpt_8_halfLds_dp_op_CI_CI_unitstride_sbrr_C2R_dirReg, .Lfunc_end0-fft_rtc_back_len104_factors_13_8_wgs_64_tpt_8_halfLds_dp_op_CI_CI_unitstride_sbrr_C2R_dirReg
                                        ; -- End function
	.section	.AMDGPU.csdata,"",@progbits
; Kernel info:
; codeLenInByte = 9204
; NumSgprs: 48
; NumVgprs: 125
; ScratchSize: 0
; MemoryBound: 0
; FloatMode: 240
; IeeeMode: 1
; LDSByteSize: 0 bytes/workgroup (compile time only)
; SGPRBlocks: 5
; VGPRBlocks: 31
; NumSGPRsForWavesPerEU: 48
; NumVGPRsForWavesPerEU: 125
; Occupancy: 2
; WaveLimiterHint : 1
; COMPUTE_PGM_RSRC2:SCRATCH_EN: 0
; COMPUTE_PGM_RSRC2:USER_SGPR: 6
; COMPUTE_PGM_RSRC2:TRAP_HANDLER: 0
; COMPUTE_PGM_RSRC2:TGID_X_EN: 1
; COMPUTE_PGM_RSRC2:TGID_Y_EN: 0
; COMPUTE_PGM_RSRC2:TGID_Z_EN: 0
; COMPUTE_PGM_RSRC2:TIDIG_COMP_CNT: 0
	.type	__hip_cuid_f14ec40de5e4451f,@object ; @__hip_cuid_f14ec40de5e4451f
	.section	.bss,"aw",@nobits
	.globl	__hip_cuid_f14ec40de5e4451f
__hip_cuid_f14ec40de5e4451f:
	.byte	0                               ; 0x0
	.size	__hip_cuid_f14ec40de5e4451f, 1

	.ident	"AMD clang version 19.0.0git (https://github.com/RadeonOpenCompute/llvm-project roc-6.4.0 25133 c7fe45cf4b819c5991fe208aaa96edf142730f1d)"
	.section	".note.GNU-stack","",@progbits
	.addrsig
	.addrsig_sym __hip_cuid_f14ec40de5e4451f
	.amdgpu_metadata
---
amdhsa.kernels:
  - .args:
      - .actual_access:  read_only
        .address_space:  global
        .offset:         0
        .size:           8
        .value_kind:     global_buffer
      - .offset:         8
        .size:           8
        .value_kind:     by_value
      - .actual_access:  read_only
        .address_space:  global
        .offset:         16
        .size:           8
        .value_kind:     global_buffer
      - .actual_access:  read_only
        .address_space:  global
        .offset:         24
        .size:           8
        .value_kind:     global_buffer
      - .actual_access:  read_only
        .address_space:  global
        .offset:         32
        .size:           8
        .value_kind:     global_buffer
      - .offset:         40
        .size:           8
        .value_kind:     by_value
      - .actual_access:  read_only
        .address_space:  global
        .offset:         48
        .size:           8
        .value_kind:     global_buffer
      - .actual_access:  read_only
        .address_space:  global
        .offset:         56
        .size:           8
        .value_kind:     global_buffer
      - .offset:         64
        .size:           4
        .value_kind:     by_value
      - .actual_access:  read_only
        .address_space:  global
        .offset:         72
        .size:           8
        .value_kind:     global_buffer
      - .actual_access:  read_only
        .address_space:  global
        .offset:         80
        .size:           8
        .value_kind:     global_buffer
      - .actual_access:  read_only
        .address_space:  global
        .offset:         88
        .size:           8
        .value_kind:     global_buffer
      - .actual_access:  write_only
        .address_space:  global
        .offset:         96
        .size:           8
        .value_kind:     global_buffer
    .group_segment_fixed_size: 0
    .kernarg_segment_align: 8
    .kernarg_segment_size: 104
    .language:       OpenCL C
    .language_version:
      - 2
      - 0
    .max_flat_workgroup_size: 64
    .name:           fft_rtc_back_len104_factors_13_8_wgs_64_tpt_8_halfLds_dp_op_CI_CI_unitstride_sbrr_C2R_dirReg
    .private_segment_fixed_size: 0
    .sgpr_count:     48
    .sgpr_spill_count: 0
    .symbol:         fft_rtc_back_len104_factors_13_8_wgs_64_tpt_8_halfLds_dp_op_CI_CI_unitstride_sbrr_C2R_dirReg.kd
    .uniform_work_group_size: 1
    .uses_dynamic_stack: false
    .vgpr_count:     125
    .vgpr_spill_count: 0
    .wavefront_size: 64
amdhsa.target:   amdgcn-amd-amdhsa--gfx906
amdhsa.version:
  - 1
  - 2
...

	.end_amdgpu_metadata
